;; amdgpu-corpus repo=ROCm/rocFFT kind=compiled arch=gfx906 opt=O3
	.text
	.amdgcn_target "amdgcn-amd-amdhsa--gfx906"
	.amdhsa_code_object_version 6
	.protected	fft_rtc_back_len1728_factors_3_6_6_16_wgs_108_tpt_108_halfLds_sp_ip_CI_unitstride_sbrr_R2C_dirReg ; -- Begin function fft_rtc_back_len1728_factors_3_6_6_16_wgs_108_tpt_108_halfLds_sp_ip_CI_unitstride_sbrr_R2C_dirReg
	.globl	fft_rtc_back_len1728_factors_3_6_6_16_wgs_108_tpt_108_halfLds_sp_ip_CI_unitstride_sbrr_R2C_dirReg
	.p2align	8
	.type	fft_rtc_back_len1728_factors_3_6_6_16_wgs_108_tpt_108_halfLds_sp_ip_CI_unitstride_sbrr_R2C_dirReg,@function
fft_rtc_back_len1728_factors_3_6_6_16_wgs_108_tpt_108_halfLds_sp_ip_CI_unitstride_sbrr_R2C_dirReg: ; @fft_rtc_back_len1728_factors_3_6_6_16_wgs_108_tpt_108_halfLds_sp_ip_CI_unitstride_sbrr_R2C_dirReg
; %bb.0:
	s_load_dwordx2 s[2:3], s[4:5], 0x50
	s_load_dwordx4 s[8:11], s[4:5], 0x0
	s_load_dwordx2 s[12:13], s[4:5], 0x18
	v_mul_u32_u24_e32 v1, 0x25f, v0
	v_add_u32_sdwa v5, s6, v1 dst_sel:DWORD dst_unused:UNUSED_PAD src0_sel:DWORD src1_sel:WORD_1
	v_mov_b32_e32 v3, 0
	s_waitcnt lgkmcnt(0)
	v_cmp_lt_u64_e64 s[0:1], s[10:11], 2
	v_mov_b32_e32 v1, 0
	v_mov_b32_e32 v6, v3
	s_and_b64 vcc, exec, s[0:1]
	v_mov_b32_e32 v2, 0
	s_cbranch_vccnz .LBB0_8
; %bb.1:
	s_load_dwordx2 s[0:1], s[4:5], 0x10
	s_add_u32 s6, s12, 8
	s_addc_u32 s7, s13, 0
	v_mov_b32_e32 v1, 0
	v_mov_b32_e32 v2, 0
	s_waitcnt lgkmcnt(0)
	s_add_u32 s14, s0, 8
	s_addc_u32 s15, s1, 0
	s_mov_b64 s[16:17], 1
.LBB0_2:                                ; =>This Inner Loop Header: Depth=1
	s_load_dwordx2 s[18:19], s[14:15], 0x0
                                        ; implicit-def: $vgpr7_vgpr8
	s_waitcnt lgkmcnt(0)
	v_or_b32_e32 v4, s19, v6
	v_cmp_ne_u64_e32 vcc, 0, v[3:4]
	s_and_saveexec_b64 s[0:1], vcc
	s_xor_b64 s[20:21], exec, s[0:1]
	s_cbranch_execz .LBB0_4
; %bb.3:                                ;   in Loop: Header=BB0_2 Depth=1
	v_cvt_f32_u32_e32 v4, s18
	v_cvt_f32_u32_e32 v7, s19
	s_sub_u32 s0, 0, s18
	s_subb_u32 s1, 0, s19
	v_mac_f32_e32 v4, 0x4f800000, v7
	v_rcp_f32_e32 v4, v4
	v_mul_f32_e32 v4, 0x5f7ffffc, v4
	v_mul_f32_e32 v7, 0x2f800000, v4
	v_trunc_f32_e32 v7, v7
	v_mac_f32_e32 v4, 0xcf800000, v7
	v_cvt_u32_f32_e32 v7, v7
	v_cvt_u32_f32_e32 v4, v4
	v_mul_lo_u32 v8, s0, v7
	v_mul_hi_u32 v9, s0, v4
	v_mul_lo_u32 v11, s1, v4
	v_mul_lo_u32 v10, s0, v4
	v_add_u32_e32 v8, v9, v8
	v_add_u32_e32 v8, v8, v11
	v_mul_hi_u32 v9, v4, v10
	v_mul_lo_u32 v11, v4, v8
	v_mul_hi_u32 v13, v4, v8
	v_mul_hi_u32 v12, v7, v10
	v_mul_lo_u32 v10, v7, v10
	v_mul_hi_u32 v14, v7, v8
	v_add_co_u32_e32 v9, vcc, v9, v11
	v_addc_co_u32_e32 v11, vcc, 0, v13, vcc
	v_mul_lo_u32 v8, v7, v8
	v_add_co_u32_e32 v9, vcc, v9, v10
	v_addc_co_u32_e32 v9, vcc, v11, v12, vcc
	v_addc_co_u32_e32 v10, vcc, 0, v14, vcc
	v_add_co_u32_e32 v8, vcc, v9, v8
	v_addc_co_u32_e32 v9, vcc, 0, v10, vcc
	v_add_co_u32_e32 v4, vcc, v4, v8
	v_addc_co_u32_e32 v7, vcc, v7, v9, vcc
	v_mul_lo_u32 v8, s0, v7
	v_mul_hi_u32 v9, s0, v4
	v_mul_lo_u32 v10, s1, v4
	v_mul_lo_u32 v11, s0, v4
	v_add_u32_e32 v8, v9, v8
	v_add_u32_e32 v8, v8, v10
	v_mul_lo_u32 v12, v4, v8
	v_mul_hi_u32 v13, v4, v11
	v_mul_hi_u32 v14, v4, v8
	;; [unrolled: 1-line block ×3, first 2 shown]
	v_mul_lo_u32 v11, v7, v11
	v_mul_hi_u32 v9, v7, v8
	v_add_co_u32_e32 v12, vcc, v13, v12
	v_addc_co_u32_e32 v13, vcc, 0, v14, vcc
	v_mul_lo_u32 v8, v7, v8
	v_add_co_u32_e32 v11, vcc, v12, v11
	v_addc_co_u32_e32 v10, vcc, v13, v10, vcc
	v_addc_co_u32_e32 v9, vcc, 0, v9, vcc
	v_add_co_u32_e32 v8, vcc, v10, v8
	v_addc_co_u32_e32 v9, vcc, 0, v9, vcc
	v_add_co_u32_e32 v4, vcc, v4, v8
	v_addc_co_u32_e32 v9, vcc, v7, v9, vcc
	v_mad_u64_u32 v[7:8], s[0:1], v5, v9, 0
	v_mul_hi_u32 v10, v5, v4
	v_add_co_u32_e32 v11, vcc, v10, v7
	v_addc_co_u32_e32 v12, vcc, 0, v8, vcc
	v_mad_u64_u32 v[7:8], s[0:1], v6, v4, 0
	v_mad_u64_u32 v[9:10], s[0:1], v6, v9, 0
	v_add_co_u32_e32 v4, vcc, v11, v7
	v_addc_co_u32_e32 v4, vcc, v12, v8, vcc
	v_addc_co_u32_e32 v7, vcc, 0, v10, vcc
	v_add_co_u32_e32 v4, vcc, v4, v9
	v_addc_co_u32_e32 v9, vcc, 0, v7, vcc
	v_mul_lo_u32 v10, s19, v4
	v_mul_lo_u32 v11, s18, v9
	v_mad_u64_u32 v[7:8], s[0:1], s18, v4, 0
	v_add3_u32 v8, v8, v11, v10
	v_sub_u32_e32 v10, v6, v8
	v_mov_b32_e32 v11, s19
	v_sub_co_u32_e32 v7, vcc, v5, v7
	v_subb_co_u32_e64 v10, s[0:1], v10, v11, vcc
	v_subrev_co_u32_e64 v11, s[0:1], s18, v7
	v_subbrev_co_u32_e64 v10, s[0:1], 0, v10, s[0:1]
	v_cmp_le_u32_e64 s[0:1], s19, v10
	v_cndmask_b32_e64 v12, 0, -1, s[0:1]
	v_cmp_le_u32_e64 s[0:1], s18, v11
	v_cndmask_b32_e64 v11, 0, -1, s[0:1]
	v_cmp_eq_u32_e64 s[0:1], s19, v10
	v_cndmask_b32_e64 v10, v12, v11, s[0:1]
	v_add_co_u32_e64 v11, s[0:1], 2, v4
	v_addc_co_u32_e64 v12, s[0:1], 0, v9, s[0:1]
	v_add_co_u32_e64 v13, s[0:1], 1, v4
	v_addc_co_u32_e64 v14, s[0:1], 0, v9, s[0:1]
	v_subb_co_u32_e32 v8, vcc, v6, v8, vcc
	v_cmp_ne_u32_e64 s[0:1], 0, v10
	v_cmp_le_u32_e32 vcc, s19, v8
	v_cndmask_b32_e64 v10, v14, v12, s[0:1]
	v_cndmask_b32_e64 v12, 0, -1, vcc
	v_cmp_le_u32_e32 vcc, s18, v7
	v_cndmask_b32_e64 v7, 0, -1, vcc
	v_cmp_eq_u32_e32 vcc, s19, v8
	v_cndmask_b32_e32 v7, v12, v7, vcc
	v_cmp_ne_u32_e32 vcc, 0, v7
	v_cndmask_b32_e64 v7, v13, v11, s[0:1]
	v_cndmask_b32_e32 v8, v9, v10, vcc
	v_cndmask_b32_e32 v7, v4, v7, vcc
.LBB0_4:                                ;   in Loop: Header=BB0_2 Depth=1
	s_andn2_saveexec_b64 s[0:1], s[20:21]
	s_cbranch_execz .LBB0_6
; %bb.5:                                ;   in Loop: Header=BB0_2 Depth=1
	v_cvt_f32_u32_e32 v4, s18
	s_sub_i32 s20, 0, s18
	v_rcp_iflag_f32_e32 v4, v4
	v_mul_f32_e32 v4, 0x4f7ffffe, v4
	v_cvt_u32_f32_e32 v4, v4
	v_mul_lo_u32 v7, s20, v4
	v_mul_hi_u32 v7, v4, v7
	v_add_u32_e32 v4, v4, v7
	v_mul_hi_u32 v4, v5, v4
	v_mul_lo_u32 v7, v4, s18
	v_add_u32_e32 v8, 1, v4
	v_sub_u32_e32 v7, v5, v7
	v_subrev_u32_e32 v9, s18, v7
	v_cmp_le_u32_e32 vcc, s18, v7
	v_cndmask_b32_e32 v7, v7, v9, vcc
	v_cndmask_b32_e32 v4, v4, v8, vcc
	v_add_u32_e32 v8, 1, v4
	v_cmp_le_u32_e32 vcc, s18, v7
	v_cndmask_b32_e32 v7, v4, v8, vcc
	v_mov_b32_e32 v8, v3
.LBB0_6:                                ;   in Loop: Header=BB0_2 Depth=1
	s_or_b64 exec, exec, s[0:1]
	v_mul_lo_u32 v4, v8, s18
	v_mul_lo_u32 v11, v7, s19
	v_mad_u64_u32 v[9:10], s[0:1], v7, s18, 0
	s_load_dwordx2 s[0:1], s[6:7], 0x0
	s_add_u32 s16, s16, 1
	v_add3_u32 v4, v10, v11, v4
	v_sub_co_u32_e32 v5, vcc, v5, v9
	v_subb_co_u32_e32 v4, vcc, v6, v4, vcc
	s_waitcnt lgkmcnt(0)
	v_mul_lo_u32 v4, s0, v4
	v_mul_lo_u32 v6, s1, v5
	v_mad_u64_u32 v[1:2], s[0:1], s0, v5, v[1:2]
	s_addc_u32 s17, s17, 0
	s_add_u32 s6, s6, 8
	v_add3_u32 v2, v6, v2, v4
	v_mov_b32_e32 v4, s10
	v_mov_b32_e32 v5, s11
	s_addc_u32 s7, s7, 0
	v_cmp_ge_u64_e32 vcc, s[16:17], v[4:5]
	s_add_u32 s14, s14, 8
	s_addc_u32 s15, s15, 0
	s_cbranch_vccnz .LBB0_9
; %bb.7:                                ;   in Loop: Header=BB0_2 Depth=1
	v_mov_b32_e32 v5, v7
	v_mov_b32_e32 v6, v8
	s_branch .LBB0_2
.LBB0_8:
	v_mov_b32_e32 v8, v6
	v_mov_b32_e32 v7, v5
.LBB0_9:
	s_lshl_b64 s[0:1], s[10:11], 3
	s_add_u32 s0, s12, s0
	s_addc_u32 s1, s13, s1
	s_load_dwordx2 s[6:7], s[0:1], 0x0
	s_load_dwordx2 s[10:11], s[4:5], 0x20
                                        ; implicit-def: $vgpr28
                                        ; implicit-def: $vgpr34
                                        ; implicit-def: $vgpr33
                                        ; implicit-def: $vgpr30
                                        ; implicit-def: $vgpr32
	s_waitcnt lgkmcnt(0)
	v_mad_u64_u32 v[1:2], s[0:1], s6, v7, v[1:2]
	s_mov_b32 s0, 0x25ed098
	v_mul_lo_u32 v3, s6, v8
	v_mul_lo_u32 v4, s7, v7
	v_mul_hi_u32 v5, v0, s0
	v_cmp_gt_u64_e64 s[0:1], s[10:11], v[7:8]
	v_cmp_le_u64_e32 vcc, s[10:11], v[7:8]
	v_add3_u32 v2, v4, v2, v3
	v_mul_u32_u24_e32 v3, 0x6c, v5
	v_sub_u32_e32 v24, v0, v3
	s_and_saveexec_b64 s[4:5], vcc
	s_xor_b64 s[4:5], exec, s[4:5]
; %bb.10:
	v_add_u32_e32 v28, 0x6c, v24
	v_add_u32_e32 v34, 0xd8, v24
	;; [unrolled: 1-line block ×5, first 2 shown]
; %bb.11:
	s_or_saveexec_b64 s[4:5], s[4:5]
	v_lshlrev_b64 v[26:27], 3, v[1:2]
	v_lshl_add_u32 v47, v24, 3, 0
	s_xor_b64 exec, exec, s[4:5]
	s_cbranch_execz .LBB0_13
; %bb.12:
	v_mov_b32_e32 v25, 0
	v_mov_b32_e32 v0, s3
	v_add_co_u32_e32 v2, vcc, s2, v26
	v_addc_co_u32_e32 v3, vcc, v0, v27, vcc
	v_lshlrev_b64 v[0:1], 3, v[24:25]
	s_movk_i32 s6, 0x1000
	v_add_co_u32_e32 v0, vcc, v2, v0
	v_addc_co_u32_e32 v1, vcc, v3, v1, vcc
	v_add_co_u32_e32 v4, vcc, s6, v0
	v_addc_co_u32_e32 v5, vcc, 0, v1, vcc
	s_movk_i32 s6, 0x2000
	v_add_co_u32_e32 v20, vcc, s6, v0
	v_addc_co_u32_e32 v21, vcc, 0, v1, vcc
	global_load_dwordx2 v[2:3], v[0:1], off offset:2592
	global_load_dwordx2 v[6:7], v[0:1], off offset:3456
	;; [unrolled: 1-line block ×5, first 2 shown]
	global_load_dwordx2 v[14:15], v[0:1], off
	global_load_dwordx2 v[16:17], v[0:1], off offset:1728
	global_load_dwordx2 v[18:19], v[0:1], off offset:864
	v_add_co_u32_e32 v0, vcc, 0x3000, v0
	global_load_dwordx2 v[22:23], v[4:5], off offset:2816
	global_load_dwordx2 v[35:36], v[4:5], off offset:3680
	;; [unrolled: 1-line block ×4, first 2 shown]
	v_addc_co_u32_e32 v1, vcc, 0, v1, vcc
	global_load_dwordx2 v[4:5], v[20:21], off offset:2176
	global_load_dwordx2 v[41:42], v[20:21], off offset:3040
	;; [unrolled: 1-line block ×4, first 2 shown]
	v_add_u32_e32 v0, 0x400, v47
	v_add_u32_e32 v1, 0xc00, v47
	;; [unrolled: 1-line block ×11, first 2 shown]
	s_waitcnt vmcnt(9)
	ds_write2_b64 v0, v[16:17], v[2:3] offset0:88 offset1:196
	s_waitcnt vmcnt(8)
	ds_write2_b64 v47, v[14:15], v[18:19] offset1:108
	ds_write2_b64 v1, v[6:7], v[8:9] offset0:48 offset1:156
	ds_write2_b64 v20, v[10:11], v[12:13] offset0:136 offset1:244
	s_waitcnt vmcnt(6)
	ds_write2_b64 v21, v[22:23], v[35:36] offset0:96 offset1:204
	s_waitcnt vmcnt(4)
	;; [unrolled: 2-line block ×3, first 2 shown]
	ds_write2_b64 v29, v[4:5], v[41:42] offset0:16 offset1:124
	v_add_u32_e32 v0, 0x2c00, v47
	s_waitcnt vmcnt(0)
	ds_write2_b64 v0, v[43:44], v[45:46] offset0:104 offset1:212
.LBB0_13:
	s_or_b64 exec, exec, s[4:5]
	v_add_u32_e32 v9, 0x1000, v47
	s_waitcnt lgkmcnt(0)
	s_barrier
	ds_read2_b64 v[11:14], v47 offset1:108
	ds_read2_b64 v[15:18], v9 offset0:64 offset1:172
	v_add_u32_e32 v8, 0x2000, v47
	ds_read2_b64 v[19:22], v8 offset0:128 offset1:236
	v_add_u32_e32 v23, 0x1c00, v47
	;; [unrolled: 2-line block ×3, first 2 shown]
	ds_read2_b64 v[48:51], v23 offset0:48 offset1:156
	s_waitcnt lgkmcnt(3)
	v_add_f32_e32 v23, v11, v15
	s_waitcnt lgkmcnt(2)
	v_add_f32_e32 v52, v23, v19
	v_add_f32_e32 v23, v15, v19
	v_fma_f32 v11, -0.5, v23, v11
	v_sub_f32_e32 v23, v16, v20
	v_mov_b32_e32 v54, v11
	v_add_u32_e32 v0, 0x400, v47
	v_fmac_f32_e32 v54, 0xbf5db3d7, v23
	v_fmac_f32_e32 v11, 0x3f5db3d7, v23
	v_add_f32_e32 v23, v12, v16
	v_add_f32_e32 v16, v16, v20
	ds_read2_b64 v[4:7], v0 offset0:88 offset1:196
	v_add_u32_e32 v10, 0x1800, v47
	v_add_u32_e32 v0, 0x2800, v47
	v_fma_f32 v12, -0.5, v16, v12
	ds_read2_b64 v[35:38], v10 offset0:24 offset1:132
	ds_read2_b64 v[39:42], v0 offset0:88 offset1:196
	v_sub_f32_e32 v15, v15, v19
	v_mov_b32_e32 v55, v12
	v_add_f32_e32 v16, v17, v21
	v_fmac_f32_e32 v55, 0x3f5db3d7, v15
	v_fmac_f32_e32 v12, 0xbf5db3d7, v15
	v_add_f32_e32 v15, v13, v17
	v_fma_f32 v13, -0.5, v16, v13
	v_sub_f32_e32 v16, v18, v22
	v_mov_b32_e32 v19, v13
	v_fmac_f32_e32 v19, 0xbf5db3d7, v16
	v_fmac_f32_e32 v13, 0x3f5db3d7, v16
	v_add_f32_e32 v16, v14, v18
	v_add_f32_e32 v18, v18, v22
	v_fmac_f32_e32 v14, -0.5, v18
	v_add_f32_e32 v53, v23, v20
	v_sub_f32_e32 v17, v17, v21
	v_mov_b32_e32 v20, v14
	s_waitcnt lgkmcnt(0)
	v_add_f32_e32 v18, v35, v39
	v_fmac_f32_e32 v20, 0x3f5db3d7, v17
	v_fmac_f32_e32 v14, 0xbf5db3d7, v17
	v_add_f32_e32 v17, v4, v35
	v_fma_f32 v4, -0.5, v18, v4
	v_add_f32_e32 v15, v15, v21
	v_add_f32_e32 v16, v16, v22
	v_sub_f32_e32 v18, v36, v40
	v_mov_b32_e32 v21, v4
	v_add_f32_e32 v22, v36, v40
	v_fmac_f32_e32 v21, 0xbf5db3d7, v18
	v_fmac_f32_e32 v4, 0x3f5db3d7, v18
	v_add_f32_e32 v18, v5, v36
	v_fma_f32 v5, -0.5, v22, v5
	v_sub_f32_e32 v23, v35, v39
	v_mov_b32_e32 v22, v5
	v_fmac_f32_e32 v22, 0x3f5db3d7, v23
	v_fmac_f32_e32 v5, 0xbf5db3d7, v23
	v_add_f32_e32 v23, v6, v37
	v_add_f32_e32 v56, v23, v41
	;; [unrolled: 1-line block ×3, first 2 shown]
	v_add_u32_e32 v0, 0xc00, v47
	v_fma_f32 v6, -0.5, v23, v6
	ds_read2_b64 v[0:3], v0 offset0:48 offset1:156
	v_sub_f32_e32 v23, v38, v42
	v_mov_b32_e32 v58, v6
	v_fmac_f32_e32 v58, 0xbf5db3d7, v23
	v_fmac_f32_e32 v6, 0x3f5db3d7, v23
	v_add_f32_e32 v23, v7, v38
	v_add_f32_e32 v57, v23, v42
	;; [unrolled: 1-line block ×3, first 2 shown]
	v_fmac_f32_e32 v7, -0.5, v23
	v_sub_f32_e32 v23, v37, v41
	v_mov_b32_e32 v59, v7
	v_fmac_f32_e32 v59, 0x3f5db3d7, v23
	v_fmac_f32_e32 v7, 0xbf5db3d7, v23
	s_waitcnt lgkmcnt(0)
	v_add_f32_e32 v23, v0, v43
	v_add_f32_e32 v35, v23, v48
	;; [unrolled: 1-line block ×3, first 2 shown]
	v_fma_f32 v0, -0.5, v23, v0
	v_sub_f32_e32 v23, v44, v49
	v_mov_b32_e32 v37, v0
	v_fmac_f32_e32 v37, 0xbf5db3d7, v23
	v_fmac_f32_e32 v0, 0x3f5db3d7, v23
	v_add_f32_e32 v23, v1, v44
	v_add_f32_e32 v36, v23, v49
	;; [unrolled: 1-line block ×3, first 2 shown]
	v_fma_f32 v1, -0.5, v23, v1
	v_sub_f32_e32 v23, v43, v48
	v_mov_b32_e32 v38, v1
	v_fmac_f32_e32 v38, 0x3f5db3d7, v23
	v_fmac_f32_e32 v1, 0xbf5db3d7, v23
	v_add_f32_e32 v23, v2, v45
	v_add_f32_e32 v17, v17, v39
	v_add_f32_e32 v39, v23, v50
	v_add_f32_e32 v23, v45, v50
	v_fma_f32 v2, -0.5, v23, v2
	v_sub_f32_e32 v23, v46, v51
	v_mov_b32_e32 v41, v2
	v_fmac_f32_e32 v41, 0xbf5db3d7, v23
	v_fmac_f32_e32 v2, 0x3f5db3d7, v23
	v_add_f32_e32 v23, v3, v46
	v_add_f32_e32 v18, v18, v40
	;; [unrolled: 1-line block ×4, first 2 shown]
	v_fmac_f32_e32 v3, -0.5, v23
	v_sub_f32_e32 v23, v45, v50
	v_mov_b32_e32 v42, v3
	v_fmac_f32_e32 v42, 0x3f5db3d7, v23
	v_fmac_f32_e32 v3, 0xbf5db3d7, v23
	v_lshl_add_u32 v23, v24, 4, v47
	v_mad_i32_i24 v25, v28, 24, 0
	v_mad_i32_i24 v31, v34, 24, 0
	s_barrier
	ds_write2_b64 v23, v[52:53], v[54:55] offset1:1
	ds_write_b64 v23, v[11:12] offset:16
	ds_write2_b64 v25, v[15:16], v[19:20] offset1:1
	ds_write_b64 v25, v[13:14] offset:16
	;; [unrolled: 2-line block ×3, first 2 shown]
	v_mad_i32_i24 v4, v33, 24, 0
	ds_write2_b64 v4, v[56:57], v[58:59] offset1:1
	ds_write_b64 v4, v[6:7] offset:16
	v_mad_i32_i24 v4, v30, 24, 0
	v_cmp_gt_u32_e32 vcc, 36, v24
	ds_write2_b64 v4, v[35:36], v[37:38] offset1:1
	ds_write_b64 v4, v[0:1] offset:16
	s_and_saveexec_b64 s[4:5], vcc
	s_cbranch_execz .LBB0_15
; %bb.14:
	v_mad_i32_i24 v4, v32, 24, 0
	ds_write2_b64 v4, v[39:40], v[41:42] offset1:1
	ds_write_b64 v4, v[2:3] offset:16
.LBB0_15:
	s_or_b64 exec, exec, s[4:5]
	v_add_u32_e32 v4, 0x800, v47
	s_waitcnt lgkmcnt(0)
	s_barrier
	ds_read2_b64 v[20:23], v4 offset0:32 offset1:140
	ds_read2_b64 v[16:19], v9 offset0:64 offset1:172
	;; [unrolled: 1-line block ×4, first 2 shown]
	v_lshlrev_b32_e32 v29, 4, v28
	v_add_u32_e32 v4, 0x2c00, v47
	v_sub_u32_e32 v43, v25, v29
	ds_read2_b64 v[4:7], v4 offset0:32 offset1:140
	ds_read_b64 v[45:46], v47
	ds_read_b64 v[43:44], v43
	s_movk_i32 s4, 0x48
	v_cmp_gt_u32_e32 vcc, s4, v24
	s_and_saveexec_b64 s[4:5], vcc
	s_cbranch_execz .LBB0_17
; %bb.16:
	v_lshlrev_b32_e32 v0, 4, v34
	v_sub_u32_e32 v0, v31, v0
	ds_read_b64 v[35:36], v0
	ds_read_b64 v[37:38], v47 offset:4032
	ds_read_b64 v[0:1], v47 offset:6336
	ds_read_b64 v[39:40], v47 offset:8640
	ds_read_b64 v[41:42], v47 offset:10944
	ds_read_b64 v[2:3], v47 offset:13248
.LBB0_17:
	s_or_b64 exec, exec, s[4:5]
	s_movk_i32 s4, 0xab
	v_mul_lo_u16_sdwa v31, v24, s4 dst_sel:DWORD dst_unused:UNUSED_PAD src0_sel:BYTE_0 src1_sel:DWORD
	v_lshrrev_b16_e32 v31, 9, v31
	v_mul_lo_u16_e32 v48, 3, v31
	v_sub_u16_e32 v56, v24, v48
	v_mov_b32_e32 v57, 5
	v_mul_u32_u24_sdwa v48, v56, v57 dst_sel:DWORD dst_unused:UNUSED_PAD src0_sel:BYTE_0 src1_sel:DWORD
	v_lshlrev_b32_e32 v58, 3, v48
	global_load_dwordx4 v[48:51], v58, s[8:9]
	global_load_dwordx4 v[52:55], v58, s[8:9] offset:16
	v_mul_u32_u24_e32 v31, 0x90, v31
	v_sub_u32_e32 v29, 0, v29
	s_waitcnt vmcnt(1) lgkmcnt(5)
	v_mul_f32_e32 v60, v51, v17
	v_fmac_f32_e32 v60, v50, v16
	v_mul_f32_e32 v16, v51, v16
	v_fma_f32 v62, v50, v17, -v16
	v_mul_lo_u16_sdwa v16, v28, s4 dst_sel:DWORD dst_unused:UNUSED_PAD src0_sel:BYTE_0 src1_sel:DWORD
	v_lshrrev_b16_e32 v63, 9, v16
	v_mul_lo_u16_e32 v16, 3, v63
	v_sub_u16_e32 v64, v28, v16
	v_mul_f32_e32 v59, v49, v21
	v_mul_f32_e32 v49, v49, v20
	v_mul_u32_u24_sdwa v16, v64, v57 dst_sel:DWORD dst_unused:UNUSED_PAD src0_sel:BYTE_0 src1_sel:DWORD
	v_fmac_f32_e32 v59, v48, v20
	v_fma_f32 v61, v48, v21, -v49
	v_lshlrev_b32_e32 v57, 3, v16
	global_load_dwordx2 v[20:21], v58, s[8:9] offset:32
	global_load_dwordx4 v[48:51], v57, s[8:9]
	s_waitcnt vmcnt(2) lgkmcnt(3)
	v_mul_f32_e32 v17, v55, v8
	s_mov_b32 s4, 0xaaab
	s_waitcnt vmcnt(0)
	v_mul_f32_e32 v58, v49, v23
	v_mul_f32_e32 v16, v49, v22
	v_fmac_f32_e32 v58, v48, v22
	v_fma_f32 v22, v48, v23, -v16
	v_mul_f32_e32 v16, v51, v18
	v_mul_f32_e32 v23, v51, v19
	v_fma_f32 v48, v50, v19, -v16
	v_mul_f32_e32 v49, v53, v13
	v_mul_f32_e32 v16, v53, v12
	v_fmac_f32_e32 v23, v50, v18
	v_fmac_f32_e32 v49, v52, v12
	v_fma_f32 v51, v52, v13, -v16
	v_fma_f32 v52, v54, v9, -v17
	global_load_dwordx4 v[16:19], v57, s[8:9] offset:16
	global_load_dwordx2 v[12:13], v57, s[8:9] offset:32
	v_mul_f32_e32 v50, v55, v9
	v_fmac_f32_e32 v50, v54, v8
	s_waitcnt vmcnt(1)
	v_mul_f32_e32 v53, v17, v15
	v_mul_f32_e32 v8, v17, v14
	v_fmac_f32_e32 v53, v16, v14
	v_fma_f32 v14, v16, v15, -v8
	v_mul_f32_e32 v8, v10, v19
	v_fma_f32 v16, v11, v18, -v8
	v_mul_u32_u24_sdwa v8, v34, s4 dst_sel:DWORD dst_unused:UNUSED_PAD src0_sel:WORD_0 src1_sel:DWORD
	v_lshrrev_b32_e32 v8, 17, v8
	v_mul_lo_u16_e32 v9, 3, v8
	v_mul_f32_e32 v15, v11, v19
	v_sub_u16_e32 v9, v34, v9
	v_fmac_f32_e32 v15, v10, v18
	v_mul_u32_u24_e32 v10, 5, v9
	v_lshlrev_b32_e32 v17, 3, v10
	s_waitcnt lgkmcnt(2)
	v_mul_f32_e32 v18, v21, v5
	v_mul_f32_e32 v10, v21, v4
	s_waitcnt vmcnt(0)
	v_mul_f32_e32 v19, v7, v13
	v_mul_f32_e32 v11, v6, v13
	v_fmac_f32_e32 v18, v20, v4
	v_fma_f32 v20, v20, v5, -v10
	v_fmac_f32_e32 v19, v6, v12
	v_fma_f32 v21, v7, v12, -v11
	global_load_dwordx4 v[4:7], v17, s[8:9]
	global_load_dwordx4 v[10:13], v17, s[8:9] offset:16
	s_waitcnt vmcnt(1)
	v_mul_f32_e32 v54, v38, v5
	v_fmac_f32_e32 v54, v37, v4
	v_mul_f32_e32 v5, v37, v5
	v_mul_f32_e32 v37, v1, v7
	v_fmac_f32_e32 v37, v0, v6
	v_mul_f32_e32 v0, v0, v7
	v_fma_f32 v55, v1, v6, -v0
	global_load_dwordx2 v[0:1], v17, s[8:9] offset:32
	v_fma_f32 v38, v38, v4, -v5
	s_waitcnt vmcnt(1)
	v_mul_f32_e32 v57, v40, v11
	v_mul_f32_e32 v4, v39, v11
	s_waitcnt lgkmcnt(1)
	v_mul_f32_e32 v65, v42, v13
	v_fmac_f32_e32 v57, v39, v10
	v_fma_f32 v39, v40, v10, -v4
	v_mul_f32_e32 v4, v41, v13
	v_fmac_f32_e32 v65, v41, v12
	v_fma_f32 v41, v42, v12, -v4
	s_waitcnt vmcnt(0) lgkmcnt(0)
	s_barrier
	v_mul_f32_e32 v40, v3, v1
	v_mul_f32_e32 v1, v2, v1
	v_fmac_f32_e32 v40, v2, v0
	v_fma_f32 v42, v3, v0, -v1
	v_add_f32_e32 v0, v45, v60
	v_add_f32_e32 v6, v0, v50
	;; [unrolled: 1-line block ×3, first 2 shown]
	v_fma_f32 v7, -0.5, v0, v45
	v_sub_f32_e32 v0, v62, v52
	v_mov_b32_e32 v10, v7
	v_fmac_f32_e32 v10, 0xbf5db3d7, v0
	v_fmac_f32_e32 v7, 0x3f5db3d7, v0
	v_add_f32_e32 v0, v46, v62
	v_add_f32_e32 v11, v0, v52
	v_add_f32_e32 v0, v62, v52
	v_fmac_f32_e32 v46, -0.5, v0
	v_sub_f32_e32 v0, v60, v50
	v_mov_b32_e32 v13, v46
	v_fmac_f32_e32 v13, 0x3f5db3d7, v0
	v_fmac_f32_e32 v46, 0xbf5db3d7, v0
	v_add_f32_e32 v0, v59, v49
	v_add_f32_e32 v12, v0, v18
	v_add_f32_e32 v0, v49, v18
	v_fmac_f32_e32 v59, -0.5, v0
	;; [unrolled: 8-line block ×3, first 2 shown]
	v_sub_f32_e32 v0, v49, v18
	v_mov_b32_e32 v5, v61
	v_fmac_f32_e32 v61, 0xbf5db3d7, v0
	v_mul_f32_e32 v20, 0xbf5db3d7, v61
	v_fmac_f32_e32 v20, -0.5, v59
	v_fmac_f32_e32 v5, 0x3f5db3d7, v0
	v_add_f32_e32 v0, v6, v12
	v_add_f32_e32 v4, v7, v20
	;; [unrolled: 1-line block ×3, first 2 shown]
	v_sub_f32_e32 v6, v6, v12
	v_sub_f32_e32 v12, v7, v20
	;; [unrolled: 1-line block ×3, first 2 shown]
	v_add_f32_e32 v17, v43, v23
	v_mul_f32_e32 v45, 0.5, v5
	v_mul_f32_e32 v49, -0.5, v61
	v_add_f32_e32 v20, v17, v15
	v_add_f32_e32 v17, v23, v15
	v_mul_f32_e32 v18, 0xbf5db3d7, v5
	v_fmac_f32_e32 v45, 0x3f5db3d7, v3
	v_fmac_f32_e32 v49, 0x3f5db3d7, v59
	v_fma_f32 v43, -0.5, v17, v43
	v_fmac_f32_e32 v18, 0.5, v3
	v_add_f32_e32 v3, v13, v45
	v_add_f32_e32 v5, v46, v49
	v_sub_f32_e32 v11, v13, v45
	v_sub_f32_e32 v13, v46, v49
	;; [unrolled: 1-line block ×3, first 2 shown]
	v_mov_b32_e32 v46, v43
	v_fmac_f32_e32 v46, 0xbf5db3d7, v17
	v_fmac_f32_e32 v43, 0x3f5db3d7, v17
	v_add_f32_e32 v17, v44, v48
	v_add_f32_e32 v49, v17, v16
	;; [unrolled: 1-line block ×3, first 2 shown]
	v_fmac_f32_e32 v44, -0.5, v16
	v_sub_f32_e32 v15, v23, v15
	v_mov_b32_e32 v23, v44
	v_fmac_f32_e32 v23, 0x3f5db3d7, v15
	v_fmac_f32_e32 v44, 0xbf5db3d7, v15
	v_add_f32_e32 v15, v58, v53
	v_add_f32_e32 v45, v15, v19
	;; [unrolled: 1-line block ×3, first 2 shown]
	v_fmac_f32_e32 v58, -0.5, v15
	v_sub_f32_e32 v15, v14, v21
	v_mov_b32_e32 v17, v58
	v_fmac_f32_e32 v17, 0xbf5db3d7, v15
	v_fmac_f32_e32 v58, 0x3f5db3d7, v15
	v_add_f32_e32 v15, v22, v14
	v_add_f32_e32 v14, v14, v21
	v_fmac_f32_e32 v22, -0.5, v14
	v_sub_f32_e32 v14, v53, v19
	v_mov_b32_e32 v19, v22
	v_fmac_f32_e32 v19, 0x3f5db3d7, v14
	v_add_f32_e32 v50, v15, v21
	v_mul_f32_e32 v21, 0xbf5db3d7, v19
	v_fmac_f32_e32 v22, 0xbf5db3d7, v14
	v_add_f32_e32 v14, v20, v45
	v_fmac_f32_e32 v21, 0.5, v17
	v_sub_f32_e32 v45, v20, v45
	v_add_f32_e32 v20, v35, v37
	v_add_f32_e32 v16, v46, v21
	v_mul_f32_e32 v51, 0xbf5db3d7, v22
	v_add_f32_e32 v15, v49, v50
	v_sub_f32_e32 v48, v46, v21
	v_sub_f32_e32 v46, v49, v50
	v_add_f32_e32 v50, v20, v65
	v_add_f32_e32 v20, v37, v65
	v_fmac_f32_e32 v51, -0.5, v58
	v_fmac_f32_e32 v35, -0.5, v20
	v_add_f32_e32 v2, v10, v18
	v_sub_f32_e32 v10, v10, v18
	v_add_f32_e32 v18, v43, v51
	v_mul_f32_e32 v52, 0.5, v19
	v_sub_f32_e32 v43, v43, v51
	v_sub_f32_e32 v20, v55, v41
	v_mov_b32_e32 v51, v35
	v_fmac_f32_e32 v52, 0x3f5db3d7, v17
	v_fmac_f32_e32 v51, 0xbf5db3d7, v20
	;; [unrolled: 1-line block ×3, first 2 shown]
	v_add_f32_e32 v20, v36, v55
	v_add_f32_e32 v17, v23, v52
	v_sub_f32_e32 v49, v23, v52
	v_add_f32_e32 v52, v20, v41
	v_add_f32_e32 v20, v55, v41
	v_fmac_f32_e32 v36, -0.5, v20
	v_sub_f32_e32 v20, v37, v65
	v_mov_b32_e32 v53, v36
	v_fmac_f32_e32 v53, 0x3f5db3d7, v20
	v_fmac_f32_e32 v36, 0xbf5db3d7, v20
	v_add_f32_e32 v20, v54, v57
	v_add_f32_e32 v41, v20, v40
	;; [unrolled: 1-line block ×3, first 2 shown]
	v_fmac_f32_e32 v54, -0.5, v20
	v_sub_f32_e32 v20, v39, v42
	v_mov_b32_e32 v23, v54
	v_fmac_f32_e32 v23, 0xbf5db3d7, v20
	v_fmac_f32_e32 v54, 0x3f5db3d7, v20
	v_add_f32_e32 v20, v38, v39
	v_add_f32_e32 v55, v20, v42
	;; [unrolled: 1-line block ×3, first 2 shown]
	v_fmac_f32_e32 v38, -0.5, v20
	v_sub_f32_e32 v20, v57, v40
	v_mov_b32_e32 v39, v38
	v_fmac_f32_e32 v39, 0x3f5db3d7, v20
	v_mul_f32_e32 v22, -0.5, v22
	v_mul_f32_e32 v40, 0xbf5db3d7, v39
	v_fmac_f32_e32 v22, 0x3f5db3d7, v58
	v_fmac_f32_e32 v38, 0xbf5db3d7, v20
	v_add_f32_e32 v20, v50, v41
	v_fmac_f32_e32 v40, 0.5, v23
	v_mul_f32_e32 v57, 0.5, v39
	v_sub_f32_e32 v39, v50, v41
	v_mov_b32_e32 v50, 3
	v_add_f32_e32 v19, v44, v22
	v_sub_f32_e32 v44, v44, v22
	v_add_f32_e32 v22, v51, v40
	v_sub_f32_e32 v41, v51, v40
	v_lshlrev_b32_sdwa v51, v50, v56 dst_sel:DWORD dst_unused:UNUSED_PAD src0_sel:DWORD src1_sel:BYTE_0
	v_mul_f32_e32 v42, 0xbf5db3d7, v38
	v_mul_f32_e32 v58, -0.5, v38
	v_add3_u32 v31, 0, v31, v51
	v_fmac_f32_e32 v42, -0.5, v54
	v_fmac_f32_e32 v57, 0x3f5db3d7, v23
	v_fmac_f32_e32 v58, 0x3f5db3d7, v54
	ds_write2_b64 v31, v[0:1], v[2:3] offset1:3
	ds_write2_b64 v31, v[4:5], v[6:7] offset0:6 offset1:9
	ds_write2_b64 v31, v[10:11], v[12:13] offset0:12 offset1:15
	v_mul_u32_u24_e32 v0, 0x90, v63
	v_lshlrev_b32_sdwa v1, v50, v64 dst_sel:DWORD dst_unused:UNUSED_PAD src0_sel:DWORD src1_sel:BYTE_0
	v_add_f32_e32 v37, v35, v42
	v_add_f32_e32 v21, v52, v55
	;; [unrolled: 1-line block ×4, first 2 shown]
	v_sub_f32_e32 v35, v35, v42
	v_sub_f32_e32 v40, v52, v55
	;; [unrolled: 1-line block ×4, first 2 shown]
	v_add3_u32 v0, 0, v0, v1
	ds_write2_b64 v0, v[14:15], v[16:17] offset1:3
	ds_write2_b64 v0, v[18:19], v[45:46] offset0:6 offset1:9
	ds_write2_b64 v0, v[48:49], v[43:44] offset0:12 offset1:15
	s_and_saveexec_b64 s[4:5], vcc
	s_cbranch_execz .LBB0_19
; %bb.18:
	v_mul_lo_u16_e32 v0, 18, v8
	v_lshlrev_b32_e32 v1, 3, v9
	v_lshlrev_b32_e32 v0, 3, v0
	v_add3_u32 v0, 0, v1, v0
	ds_write2_b64 v0, v[20:21], v[22:23] offset1:3
	ds_write2_b64 v0, v[37:38], v[39:40] offset0:6 offset1:9
	ds_write2_b64 v0, v[41:42], v[35:36] offset0:12 offset1:15
.LBB0_19:
	s_or_b64 exec, exec, s[4:5]
	v_add_u32_e32 v0, 0x800, v47
	s_waitcnt lgkmcnt(0)
	s_barrier
	ds_read2_b64 v[16:19], v0 offset0:32 offset1:140
	v_add_u32_e32 v0, 0x1000, v47
	ds_read2_b64 v[12:15], v0 offset0:64 offset1:172
	v_add_u32_e32 v0, 0x1800, v47
	;; [unrolled: 2-line block ×5, first 2 shown]
	ds_read_b64 v[45:46], v47
	ds_read_b64 v[43:44], v49
	v_lshl_add_u32 v48, v34, 3, 0
	s_and_saveexec_b64 s[4:5], vcc
	s_cbranch_execz .LBB0_21
; %bb.20:
	ds_read_b64 v[20:21], v48
	ds_read_b64 v[22:23], v47 offset:4032
	ds_read_b64 v[37:38], v47 offset:6336
	;; [unrolled: 1-line block ×5, first 2 shown]
.LBB0_21:
	s_or_b64 exec, exec, s[4:5]
	v_mov_b32_e32 v25, 57
	v_mul_lo_u16_sdwa v29, v24, v25 dst_sel:DWORD dst_unused:UNUSED_PAD src0_sel:BYTE_0 src1_sel:DWORD
	v_lshrrev_b16_e32 v29, 10, v29
	v_mul_lo_u16_e32 v31, 18, v29
	v_sub_u16_e32 v31, v24, v31
	v_mov_b32_e32 v60, 5
	v_mul_u32_u24_sdwa v50, v31, v60 dst_sel:DWORD dst_unused:UNUSED_PAD src0_sel:BYTE_0 src1_sel:DWORD
	v_lshlrev_b32_e32 v61, 3, v50
	global_load_dwordx2 v[58:59], v61, s[8:9] offset:152
	global_load_dwordx4 v[50:53], v61, s[8:9] offset:136
	global_load_dwordx4 v[54:57], v61, s[8:9] offset:120
	v_mul_u32_u24_e32 v29, 0x360, v29
	s_waitcnt vmcnt(0) lgkmcnt(6)
	v_mul_f32_e32 v61, v55, v17
	v_fmac_f32_e32 v61, v54, v16
	v_mul_f32_e32 v16, v55, v16
	v_fma_f32 v16, v54, v17, -v16
	s_waitcnt lgkmcnt(5)
	v_mul_f32_e32 v17, v57, v13
	v_fmac_f32_e32 v17, v56, v12
	v_mul_f32_e32 v12, v57, v12
	v_fma_f32 v12, v56, v13, -v12
	s_waitcnt lgkmcnt(4)
	v_mul_f32_e32 v13, v51, v9
	v_fmac_f32_e32 v13, v50, v8
	v_mul_f32_e32 v8, v51, v8
	v_fma_f32 v8, v50, v9, -v8
	s_waitcnt lgkmcnt(3)
	v_mul_f32_e32 v9, v53, v5
	v_fmac_f32_e32 v9, v52, v4
	v_mul_f32_e32 v4, v53, v4
	v_fma_f32 v4, v52, v5, -v4
	s_waitcnt lgkmcnt(2)
	v_mul_f32_e32 v5, v59, v1
	v_fmac_f32_e32 v5, v58, v0
	v_mul_f32_e32 v0, v59, v0
	v_fma_f32 v58, v58, v1, -v0
	v_mul_lo_u16_sdwa v0, v28, v25 dst_sel:DWORD dst_unused:UNUSED_PAD src0_sel:BYTE_0 src1_sel:DWORD
	v_lshrrev_b16_e32 v25, 10, v0
	v_mul_lo_u16_e32 v0, 18, v25
	v_sub_u16_e32 v59, v28, v0
	v_mul_u32_u24_sdwa v0, v59, v60 dst_sel:DWORD dst_unused:UNUSED_PAD src0_sel:BYTE_0 src1_sel:DWORD
	v_lshlrev_b32_e32 v60, 3, v0
	global_load_dwordx2 v[0:1], v60, s[8:9] offset:152
	global_load_dwordx4 v[50:53], v60, s[8:9] offset:136
	global_load_dwordx4 v[54:57], v60, s[8:9] offset:120
	s_waitcnt vmcnt(0) lgkmcnt(0)
	s_barrier
	v_mul_f32_e32 v60, v55, v19
	v_fmac_f32_e32 v60, v54, v18
	v_mul_f32_e32 v18, v55, v18
	v_fma_f32 v18, v54, v19, -v18
	v_mul_f32_e32 v19, v57, v15
	v_fmac_f32_e32 v19, v56, v14
	v_mul_f32_e32 v14, v57, v14
	v_fma_f32 v14, v56, v15, -v14
	v_mul_f32_e32 v15, v51, v11
	v_fmac_f32_e32 v15, v50, v10
	v_mul_f32_e32 v10, v51, v10
	v_mul_f32_e32 v51, v7, v53
	v_fmac_f32_e32 v51, v6, v52
	v_mul_f32_e32 v6, v6, v53
	v_mul_f32_e32 v53, v3, v1
	;; [unrolled: 1-line block ×3, first 2 shown]
	v_fmac_f32_e32 v53, v2, v0
	v_fma_f32 v54, v3, v0, -v1
	v_add_f32_e32 v0, v45, v17
	v_fma_f32 v52, v7, v52, -v6
	v_add_f32_e32 v6, v0, v9
	v_add_f32_e32 v0, v17, v9
	v_fma_f32 v7, -0.5, v0, v45
	v_fma_f32 v50, v50, v11, -v10
	v_sub_f32_e32 v0, v12, v4
	v_mov_b32_e32 v10, v7
	v_fmac_f32_e32 v10, 0xbf5db3d7, v0
	v_fmac_f32_e32 v7, 0x3f5db3d7, v0
	v_add_f32_e32 v0, v46, v12
	v_add_f32_e32 v11, v0, v4
	v_add_f32_e32 v0, v12, v4
	v_fmac_f32_e32 v46, -0.5, v0
	v_sub_f32_e32 v0, v17, v9
	v_mov_b32_e32 v9, v46
	v_fmac_f32_e32 v9, 0x3f5db3d7, v0
	v_fmac_f32_e32 v46, 0xbf5db3d7, v0
	v_add_f32_e32 v0, v61, v13
	v_add_f32_e32 v12, v0, v5
	v_add_f32_e32 v0, v13, v5
	v_fmac_f32_e32 v61, -0.5, v0
	;; [unrolled: 8-line block ×3, first 2 shown]
	v_sub_f32_e32 v0, v13, v5
	v_mov_b32_e32 v5, v16
	v_fmac_f32_e32 v5, 0x3f5db3d7, v0
	v_mul_f32_e32 v45, 0.5, v5
	v_fmac_f32_e32 v16, 0xbf5db3d7, v0
	v_add_f32_e32 v0, v6, v12
	v_mul_f32_e32 v8, 0xbf5db3d7, v5
	v_fmac_f32_e32 v45, 0x3f5db3d7, v3
	v_sub_f32_e32 v6, v6, v12
	v_add_f32_e32 v12, v43, v19
	v_fmac_f32_e32 v8, 0.5, v3
	v_mul_f32_e32 v13, 0xbf5db3d7, v16
	v_add_f32_e32 v3, v9, v45
	v_mul_f32_e32 v16, -0.5, v16
	v_sub_f32_e32 v9, v9, v45
	v_add_f32_e32 v45, v12, v51
	v_add_f32_e32 v12, v19, v51
	v_fmac_f32_e32 v13, -0.5, v61
	v_fmac_f32_e32 v16, 0x3f5db3d7, v61
	v_fma_f32 v43, -0.5, v12, v43
	v_add_f32_e32 v2, v10, v8
	v_add_f32_e32 v4, v7, v13
	;; [unrolled: 1-line block ×4, first 2 shown]
	v_sub_f32_e32 v8, v10, v8
	v_sub_f32_e32 v10, v7, v13
	;; [unrolled: 1-line block ×5, first 2 shown]
	v_mov_b32_e32 v46, v43
	v_fmac_f32_e32 v46, 0xbf5db3d7, v12
	v_fmac_f32_e32 v43, 0x3f5db3d7, v12
	v_add_f32_e32 v12, v44, v14
	v_add_f32_e32 v55, v12, v52
	v_add_f32_e32 v12, v14, v52
	v_fmac_f32_e32 v44, -0.5, v12
	v_sub_f32_e32 v12, v19, v51
	v_mov_b32_e32 v51, v44
	v_fmac_f32_e32 v51, 0x3f5db3d7, v12
	v_fmac_f32_e32 v44, 0xbf5db3d7, v12
	v_add_f32_e32 v12, v60, v15
	v_add_f32_e32 v19, v12, v53
	v_add_f32_e32 v12, v15, v53
	v_fmac_f32_e32 v60, -0.5, v12
	v_sub_f32_e32 v12, v50, v54
	;; [unrolled: 8-line block ×3, first 2 shown]
	v_mov_b32_e32 v15, v18
	v_fmac_f32_e32 v15, 0x3f5db3d7, v12
	v_mul_f32_e32 v50, 0xbf5db3d7, v15
	v_fmac_f32_e32 v18, 0xbf5db3d7, v12
	v_fmac_f32_e32 v50, 0.5, v17
	v_add_f32_e32 v12, v45, v19
	v_add_f32_e32 v14, v46, v50
	v_mul_f32_e32 v53, 0xbf5db3d7, v18
	v_mul_f32_e32 v56, -0.5, v18
	v_sub_f32_e32 v18, v45, v19
	v_sub_f32_e32 v45, v46, v50
	v_mov_b32_e32 v50, 3
	v_lshlrev_b32_sdwa v31, v50, v31 dst_sel:DWORD dst_unused:UNUSED_PAD src0_sel:DWORD src1_sel:BYTE_0
	v_mul_f32_e32 v54, 0.5, v15
	v_add3_u32 v29, 0, v29, v31
	v_fmac_f32_e32 v54, 0x3f5db3d7, v17
	ds_write2_b64 v29, v[0:1], v[2:3] offset1:18
	ds_write2_b64 v29, v[4:5], v[6:7] offset0:36 offset1:54
	ds_write2_b64 v29, v[8:9], v[10:11] offset0:72 offset1:90
	v_mul_u32_u24_e32 v0, 0x360, v25
	v_lshlrev_b32_sdwa v1, v50, v59 dst_sel:DWORD dst_unused:UNUSED_PAD src0_sel:DWORD src1_sel:BYTE_0
	v_fmac_f32_e32 v53, -0.5, v60
	v_add_f32_e32 v13, v55, v52
	v_add_f32_e32 v15, v51, v54
	v_fmac_f32_e32 v56, 0x3f5db3d7, v60
	v_add3_u32 v0, 0, v0, v1
	v_add_f32_e32 v16, v43, v53
	v_add_f32_e32 v17, v44, v56
	v_sub_f32_e32 v43, v43, v53
	v_sub_f32_e32 v19, v55, v52
	;; [unrolled: 1-line block ×4, first 2 shown]
	ds_write2_b64 v0, v[12:13], v[14:15] offset1:18
	ds_write2_b64 v0, v[16:17], v[18:19] offset0:36 offset1:54
	ds_write2_b64 v0, v[45:46], v[43:44] offset0:72 offset1:90
	s_and_saveexec_b64 s[4:5], vcc
	s_cbranch_execz .LBB0_23
; %bb.22:
	s_mov_b32 s6, 0xe38f
	v_mul_u32_u24_sdwa v0, v34, s6 dst_sel:DWORD dst_unused:UNUSED_PAD src0_sel:WORD_0 src1_sel:DWORD
	v_lshrrev_b32_e32 v10, 20, v0
	v_mul_lo_u16_e32 v0, 18, v10
	v_sub_u16_e32 v11, v34, v0
	v_mul_u32_u24_e32 v0, 5, v11
	v_lshlrev_b32_e32 v12, 3, v0
	global_load_dwordx4 v[0:3], v12, s[8:9] offset:120
	global_load_dwordx4 v[4:7], v12, s[8:9] offset:136
	global_load_dwordx2 v[8:9], v12, s[8:9] offset:152
	v_mul_lo_u16_e32 v10, 0x6c, v10
	v_lshlrev_b32_e32 v10, 3, v10
	v_lshlrev_b32_e32 v11, 3, v11
	v_add3_u32 v12, 0, v11, v10
	s_waitcnt vmcnt(2)
	v_mul_f32_e32 v10, v37, v3
	v_mul_f32_e32 v3, v38, v3
	s_waitcnt vmcnt(1)
	v_mul_f32_e32 v14, v40, v5
	s_waitcnt vmcnt(0)
	v_mul_f32_e32 v15, v36, v9
	v_mul_f32_e32 v5, v39, v5
	;; [unrolled: 1-line block ×7, first 2 shown]
	v_fma_f32 v10, v38, v2, -v10
	v_fmac_f32_e32 v3, v37, v2
	v_fmac_f32_e32 v14, v39, v4
	;; [unrolled: 1-line block ×3, first 2 shown]
	v_fma_f32 v2, v40, v4, -v5
	v_fma_f32 v4, v36, v8, -v9
	;; [unrolled: 1-line block ×3, first 2 shown]
	v_fmac_f32_e32 v7, v41, v6
	v_fmac_f32_e32 v13, v22, v0
	v_fma_f32 v0, v23, v0, -v1
	v_add_f32_e32 v6, v14, v15
	v_add_f32_e32 v9, v2, v4
	v_sub_f32_e32 v5, v3, v7
	v_sub_f32_e32 v8, v2, v4
	;; [unrolled: 1-line block ×3, first 2 shown]
	v_add_f32_e32 v17, v21, v10
	v_add_f32_e32 v2, v0, v2
	;; [unrolled: 1-line block ×5, first 2 shown]
	v_fma_f32 v6, -0.5, v6, v13
	v_fma_f32 v9, -0.5, v9, v0
	v_add_f32_e32 v1, v10, v11
	v_sub_f32_e32 v10, v10, v11
	v_add_f32_e32 v11, v17, v11
	v_add_f32_e32 v2, v2, v4
	v_fma_f32 v13, -0.5, v18, v20
	v_add_f32_e32 v4, v3, v7
	v_add_f32_e32 v7, v14, v15
	v_mov_b32_e32 v15, v6
	v_mov_b32_e32 v17, v9
	v_fmac_f32_e32 v9, 0x3f5db3d7, v16
	v_fma_f32 v19, -0.5, v1, v21
	v_fmac_f32_e32 v6, 0xbf5db3d7, v8
	v_sub_f32_e32 v1, v11, v2
	v_mov_b32_e32 v18, v13
	v_sub_f32_e32 v0, v4, v7
	v_add_f32_e32 v3, v11, v2
	v_add_f32_e32 v2, v4, v7
	v_fmac_f32_e32 v15, 0x3f5db3d7, v8
	v_fmac_f32_e32 v17, 0xbf5db3d7, v16
	v_mul_f32_e32 v7, 0.5, v9
	v_mul_f32_e32 v8, 0xbf5db3d7, v9
	v_mov_b32_e32 v14, v19
	v_fmac_f32_e32 v19, 0x3f5db3d7, v5
	v_fmac_f32_e32 v13, 0xbf5db3d7, v10
	;; [unrolled: 1-line block ×3, first 2 shown]
	v_mul_f32_e32 v10, -0.5, v17
	v_fmac_f32_e32 v7, 0x3f5db3d7, v6
	v_mul_f32_e32 v16, 0xbf5db3d7, v17
	v_fmac_f32_e32 v8, 0.5, v6
	v_fmac_f32_e32 v14, 0xbf5db3d7, v5
	v_fmac_f32_e32 v10, 0x3f5db3d7, v15
	v_sub_f32_e32 v5, v19, v7
	v_fmac_f32_e32 v16, -0.5, v15
	v_add_f32_e32 v7, v19, v7
	v_add_f32_e32 v6, v13, v8
	v_sub_f32_e32 v4, v13, v8
	v_sub_f32_e32 v9, v14, v10
	;; [unrolled: 1-line block ×3, first 2 shown]
	v_add_f32_e32 v11, v14, v10
	v_add_f32_e32 v10, v18, v16
	ds_write2_b64 v12, v[2:3], v[6:7] offset1:18
	ds_write2_b64 v12, v[10:11], v[0:1] offset0:36 offset1:54
	ds_write2_b64 v12, v[4:5], v[8:9] offset0:72 offset1:90
.LBB0_23:
	s_or_b64 exec, exec, s[4:5]
	v_mul_u32_u24_e32 v0, 15, v24
	v_lshlrev_b32_e32 v4, 3, v0
	s_waitcnt lgkmcnt(0)
	s_barrier
	global_load_dwordx4 v[0:3], v4, s[8:9] offset:840
	global_load_dwordx4 v[7:10], v4, s[8:9] offset:856
	;; [unrolled: 1-line block ×7, first 2 shown]
	global_load_dwordx2 v[43:44], v4, s[8:9] offset:952
	ds_read_b64 v[45:46], v49
	v_lshl_add_u32 v6, v33, 3, 0
	v_lshl_add_u32 v5, v30, 3, 0
	;; [unrolled: 1-line block ×3, first 2 shown]
	ds_read_b64 v[50:51], v48
	ds_read_b64 v[52:53], v47
	;; [unrolled: 1-line block ×5, first 2 shown]
	v_add_u32_e32 v23, 0x1000, v47
	v_add_u32_e32 v25, 0x1800, v47
	s_add_u32 s6, s8, 0x35e8
	s_addc_u32 s7, s9, 0
	v_cmp_ne_u32_e32 vcc, 0, v24
	s_waitcnt vmcnt(7) lgkmcnt(5)
	v_mul_f32_e32 v29, v1, v46
	v_mul_f32_e32 v1, v1, v45
	v_fmac_f32_e32 v29, v0, v45
	v_fma_f32 v31, v0, v46, -v1
	s_waitcnt lgkmcnt(4)
	v_mul_f32_e32 v45, v3, v51
	v_mul_f32_e32 v0, v3, v50
	v_fmac_f32_e32 v45, v2, v50
	v_fma_f32 v46, v2, v51, -v0
	ds_read2_b64 v[0:3], v23 offset0:136 offset1:244
	s_waitcnt vmcnt(6) lgkmcnt(3)
	v_mul_f32_e32 v50, v8, v55
	v_mul_f32_e32 v8, v8, v54
	v_fmac_f32_e32 v50, v7, v54
	v_fma_f32 v51, v7, v55, -v8
	s_waitcnt lgkmcnt(2)
	v_mul_f32_e32 v7, v10, v56
	v_mul_f32_e32 v54, v10, v57
	v_fma_f32 v55, v9, v57, -v7
	s_waitcnt vmcnt(5) lgkmcnt(1)
	v_mul_f32_e32 v60, v59, v12
	v_mul_f32_e32 v7, v58, v12
	s_waitcnt lgkmcnt(0)
	v_mul_f32_e32 v12, v1, v14
	v_mul_f32_e32 v8, v0, v14
	v_fmac_f32_e32 v54, v9, v56
	v_fmac_f32_e32 v60, v58, v11
	v_fma_f32 v11, v59, v11, -v7
	v_fmac_f32_e32 v12, v0, v13
	v_fma_f32 v13, v1, v13, -v8
	ds_read2_b64 v[7:10], v25 offset0:96 offset1:204
	s_waitcnt vmcnt(4)
	v_mul_f32_e32 v14, v3, v16
	v_mul_f32_e32 v0, v2, v16
	v_add_u32_e32 v56, 0x2000, v47
	v_fmac_f32_e32 v14, v2, v15
	v_fma_f32 v15, v3, v15, -v0
	s_waitcnt lgkmcnt(0)
	v_mul_f32_e32 v16, v8, v18
	v_mul_f32_e32 v0, v7, v18
	v_fmac_f32_e32 v16, v7, v17
	v_fma_f32 v17, v8, v17, -v0
	ds_read2_b64 v[0:3], v56 offset0:56 offset1:164
	s_waitcnt vmcnt(3)
	v_mul_f32_e32 v18, v10, v20
	v_mul_f32_e32 v7, v9, v20
	v_add_u32_e32 v57, 0x2800, v47
	v_fmac_f32_e32 v18, v9, v19
	v_fma_f32 v19, v10, v19, -v7
	s_waitcnt lgkmcnt(0)
	v_mul_f32_e32 v20, v1, v22
	v_mul_f32_e32 v7, v0, v22
	v_fmac_f32_e32 v20, v0, v21
	v_fma_f32 v21, v1, v21, -v7
	ds_read2_b64 v[7:10], v57 offset0:16 offset1:124
	s_waitcnt vmcnt(2)
	v_mul_f32_e32 v22, v3, v36
	v_mul_f32_e32 v0, v2, v36
	v_fmac_f32_e32 v22, v2, v35
	v_fma_f32 v35, v3, v35, -v0
	s_waitcnt lgkmcnt(0)
	v_mul_f32_e32 v36, v8, v38
	v_mul_f32_e32 v0, v7, v38
	v_add_u32_e32 v58, 0x2c00, v47
	v_fmac_f32_e32 v36, v7, v37
	v_fma_f32 v7, v8, v37, -v0
	s_waitcnt vmcnt(1)
	v_mul_f32_e32 v0, v9, v40
	v_fma_f32 v8, v10, v39, -v0
	ds_read2_b64 v[0:3], v58 offset0:104 offset1:212
	v_mul_f32_e32 v38, v10, v40
	v_fmac_f32_e32 v38, v9, v39
	v_sub_f32_e32 v7, v55, v7
	v_sub_f32_e32 v10, v53, v17
	s_waitcnt lgkmcnt(0)
	v_mul_f32_e32 v9, v1, v42
	v_fmac_f32_e32 v9, v0, v41
	v_mul_f32_e32 v0, v0, v42
	v_fma_f32 v0, v1, v41, -v0
	s_waitcnt vmcnt(0)
	v_mul_f32_e32 v1, v3, v44
	v_fmac_f32_e32 v1, v2, v43
	v_mul_f32_e32 v2, v2, v44
	v_fma_f32 v2, v3, v43, -v2
	v_sub_f32_e32 v3, v52, v16
	v_sub_f32_e32 v36, v54, v36
	v_fma_f32 v39, v55, 2.0, -v7
	v_sub_f32_e32 v20, v45, v20
	v_sub_f32_e32 v9, v12, v9
	;; [unrolled: 1-line block ×7, first 2 shown]
	v_add_f32_e32 v7, v3, v7
	v_fma_f32 v16, v52, 2.0, -v3
	v_fma_f32 v17, v53, 2.0, -v10
	;; [unrolled: 1-line block ×3, first 2 shown]
	v_sub_f32_e32 v21, v46, v21
	v_fma_f32 v40, v45, 2.0, -v20
	v_fma_f32 v12, v12, 2.0, -v9
	;; [unrolled: 1-line block ×3, first 2 shown]
	v_sub_f32_e32 v19, v31, v19
	v_fma_f32 v29, v29, 2.0, -v18
	v_sub_f32_e32 v8, v11, v8
	v_fma_f32 v42, v60, 2.0, -v38
	;; [unrolled: 2-line block ×5, first 2 shown]
	v_add_f32_e32 v0, v20, v0
	v_fma_f32 v31, v31, 2.0, -v19
	v_fma_f32 v11, v11, 2.0, -v8
	;; [unrolled: 1-line block ×4, first 2 shown]
	v_sub_f32_e32 v39, v17, v39
	v_fma_f32 v10, v10, 2.0, -v36
	v_sub_f32_e32 v12, v40, v12
	v_sub_f32_e32 v9, v21, v9
	v_fma_f32 v20, v20, 2.0, -v0
	v_sub_f32_e32 v42, v29, v42
	v_sub_f32_e32 v14, v43, v14
	v_mov_b32_e32 v45, v3
	v_fma_f32 v41, v46, 2.0, -v21
	v_fma_f32 v21, v21, 2.0, -v9
	v_sub_f32_e32 v11, v31, v11
	v_fma_f32 v29, v29, 2.0, -v42
	v_add_f32_e32 v8, v18, v8
	v_sub_f32_e32 v15, v44, v15
	v_fma_f32 v43, v43, 2.0, -v14
	v_fmac_f32_e32 v45, 0xbf3504f3, v20
	v_mov_b32_e32 v46, v10
	v_sub_f32_e32 v51, v39, v12
	v_mov_b32_e32 v53, v36
	v_fma_f32 v17, v17, 2.0, -v39
	v_fma_f32 v31, v31, 2.0, -v11
	v_sub_f32_e32 v38, v19, v38
	v_fma_f32 v18, v18, 2.0, -v8
	v_fma_f32 v44, v44, 2.0, -v15
	v_add_f32_e32 v2, v22, v2
	v_fmac_f32_e32 v46, 0xbf3504f3, v21
	v_fmac_f32_e32 v45, 0x3f3504f3, v21
	v_fma_f32 v21, v39, 2.0, -v51
	v_mov_b32_e32 v52, v7
	v_fmac_f32_e32 v53, 0x3f3504f3, v9
	v_sub_f32_e32 v39, v29, v43
	v_fma_f32 v19, v19, 2.0, -v38
	v_sub_f32_e32 v1, v35, v1
	v_fma_f32 v22, v22, 2.0, -v2
	v_fmac_f32_e32 v52, 0x3f3504f3, v0
	v_fmac_f32_e32 v53, 0xbf3504f3, v0
	v_sub_f32_e32 v43, v31, v44
	v_fma_f32 v0, v29, 2.0, -v39
	v_mov_b32_e32 v29, v18
	v_sub_f32_e32 v37, v16, v37
	v_sub_f32_e32 v13, v41, v13
	v_fma_f32 v35, v35, 2.0, -v1
	v_fmac_f32_e32 v46, 0xbf3504f3, v20
	v_fma_f32 v20, v3, 2.0, -v45
	v_fma_f32 v3, v31, 2.0, -v43
	v_fmac_f32_e32 v29, 0xbf3504f3, v22
	v_mov_b32_e32 v31, v19
	v_mov_b32_e32 v55, v8
	v_add_f32_e32 v50, v37, v13
	v_fmac_f32_e32 v52, 0x3f3504f3, v9
	v_fmac_f32_e32 v31, 0xbf3504f3, v35
	v_fmac_f32_e32 v29, 0x3f3504f3, v35
	v_fmac_f32_e32 v55, 0x3f3504f3, v2
	v_fma_f32 v16, v16, 2.0, -v37
	v_fma_f32 v40, v40, 2.0, -v12
	v_fma_f32 v41, v41, 2.0, -v13
	v_fma_f32 v10, v10, 2.0, -v46
	v_fma_f32 v13, v37, 2.0, -v50
	v_fma_f32 v37, v7, 2.0, -v52
	v_fmac_f32_e32 v31, 0xbf3504f3, v22
	v_fma_f32 v9, v18, 2.0, -v29
	v_add_f32_e32 v44, v42, v15
	v_sub_f32_e32 v54, v11, v14
	v_fmac_f32_e32 v55, 0x3f3504f3, v1
	v_mov_b32_e32 v7, v20
	v_sub_f32_e32 v40, v16, v40
	v_fma_f32 v12, v19, 2.0, -v31
	v_fma_f32 v14, v42, 2.0, -v44
	;; [unrolled: 1-line block ×3, first 2 shown]
	v_mov_b32_e32 v59, v38
	v_fma_f32 v18, v8, 2.0, -v55
	v_fmac_f32_e32 v7, 0xbf6c835e, v9
	v_mov_b32_e32 v8, v10
	v_mov_b32_e32 v11, v13
	v_fma_f32 v16, v16, 2.0, -v40
	v_fmac_f32_e32 v59, 0x3f3504f3, v1
	v_fmac_f32_e32 v8, 0xbf6c835e, v12
	;; [unrolled: 1-line block ×4, first 2 shown]
	v_mov_b32_e32 v12, v21
	v_fma_f32 v36, v36, 2.0, -v53
	v_fmac_f32_e32 v59, 0xbf3504f3, v2
	v_sub_f32_e32 v0, v16, v0
	v_fmac_f32_e32 v12, 0xbf3504f3, v15
	v_fmac_f32_e32 v11, 0x3f3504f3, v15
	v_mov_b32_e32 v15, v37
	v_fma_f32 v19, v38, 2.0, -v59
	v_fma_f32 v2, v16, 2.0, -v0
	v_fmac_f32_e32 v15, 0xbec3ef15, v18
	v_mov_b32_e32 v16, v36
	v_sub_f32_e32 v41, v17, v41
	v_fmac_f32_e32 v12, 0xbf3504f3, v14
	v_fmac_f32_e32 v16, 0xbec3ef15, v19
	;; [unrolled: 1-line block ×3, first 2 shown]
	v_add_f32_e32 v19, v40, v43
	v_fma_f32 v17, v17, 2.0, -v41
	v_fma_f32 v14, v21, 2.0, -v12
	v_fmac_f32_e32 v16, 0xbf6c835e, v18
	v_fma_f32 v21, v40, 2.0, -v19
	v_mov_b32_e32 v40, v51
	v_sub_f32_e32 v1, v17, v3
	v_fmac_f32_e32 v8, 0xbec3ef15, v9
	v_fma_f32 v9, v20, 2.0, -v7
	v_fma_f32 v18, v36, 2.0, -v16
	v_sub_f32_e32 v20, v41, v39
	v_mov_b32_e32 v35, v45
	v_mov_b32_e32 v36, v46
	;; [unrolled: 1-line block ×3, first 2 shown]
	v_fmac_f32_e32 v40, 0x3f3504f3, v54
	v_fma_f32 v3, v17, 2.0, -v1
	v_fma_f32 v10, v10, 2.0, -v8
	v_fmac_f32_e32 v35, 0x3ec3ef15, v29
	v_fmac_f32_e32 v36, 0x3ec3ef15, v31
	;; [unrolled: 1-line block ×4, first 2 shown]
	v_mov_b32_e32 v43, v52
	v_mov_b32_e32 v44, v53
	v_fma_f32 v13, v13, 2.0, -v11
	v_fma_f32 v17, v37, 2.0, -v15
	v_fmac_f32_e32 v35, 0x3f6c835e, v31
	v_fmac_f32_e32 v36, 0xbf6c835e, v29
	;; [unrolled: 1-line block ×4, first 2 shown]
	s_barrier
	ds_write2_b64 v47, v[2:3], v[9:10] offset1:108
	v_add_u32_e32 v2, 0x400, v47
	v_fma_f32 v22, v41, 2.0, -v20
	v_fma_f32 v37, v45, 2.0, -v35
	;; [unrolled: 1-line block ×3, first 2 shown]
	v_fmac_f32_e32 v39, 0x3f3504f3, v54
	v_fmac_f32_e32 v43, 0x3ec3ef15, v59
	v_fmac_f32_e32 v44, 0xbec3ef15, v55
	ds_write2_b64 v2, v[13:14], v[17:18] offset0:88 offset1:196
	v_add_u32_e32 v2, 0xc00, v47
	v_fma_f32 v41, v50, 2.0, -v39
	v_fma_f32 v42, v51, 2.0, -v40
	;; [unrolled: 1-line block ×4, first 2 shown]
	ds_write2_b64 v2, v[21:22], v[37:38] offset0:48 offset1:156
	ds_write2_b64 v23, v[41:42], v[45:46] offset0:136 offset1:244
	;; [unrolled: 1-line block ×6, first 2 shown]
	s_waitcnt lgkmcnt(0)
	s_barrier
	ds_read_b64 v[2:3], v47
	v_lshlrev_b32_e32 v0, 3, v24
	v_sub_u32_e32 v7, 0, v0
                                        ; implicit-def: $vgpr0
                                        ; implicit-def: $vgpr8
                                        ; implicit-def: $vgpr9
	s_and_saveexec_b64 s[4:5], vcc
	s_xor_b64 s[4:5], exec, s[4:5]
	s_cbranch_execz .LBB0_25
; %bb.24:
	v_mov_b32_e32 v25, 0
	v_lshlrev_b64 v[0:1], 3, v[24:25]
	v_mov_b32_e32 v8, s7
	v_add_co_u32_e32 v0, vcc, s6, v0
	v_addc_co_u32_e32 v1, vcc, v8, v1, vcc
	global_load_dwordx2 v[10:11], v[0:1], off
	ds_read_b64 v[0:1], v7 offset:13824
	s_waitcnt lgkmcnt(0)
	v_add_f32_e32 v12, v0, v2
	v_sub_f32_e32 v0, v2, v0
	v_add_f32_e32 v8, v1, v3
	v_sub_f32_e32 v1, v3, v1
	v_mul_f32_e32 v3, 0.5, v0
	v_mul_f32_e32 v2, 0.5, v8
	;; [unrolled: 1-line block ×3, first 2 shown]
	s_waitcnt vmcnt(0)
	v_mul_f32_e32 v1, v11, v3
	v_fma_f32 v9, v2, v11, v0
	v_fma_f32 v11, v2, v11, -v0
	v_fma_f32 v8, 0.5, v12, v1
	v_fma_f32 v0, v12, 0.5, -v1
	v_fma_f32 v9, -v10, v3, v9
	v_fmac_f32_e32 v8, v10, v2
	v_fma_f32 v0, -v10, v2, v0
	v_fma_f32 v1, -v10, v3, v11
                                        ; implicit-def: $vgpr2_vgpr3
.LBB0_25:
	s_andn2_saveexec_b64 s[4:5], s[4:5]
	s_cbranch_execz .LBB0_27
; %bb.26:
	v_mov_b32_e32 v9, 0
	ds_read_b32 v1, v9 offset:6916
	s_waitcnt lgkmcnt(1)
	v_add_f32_e32 v8, v2, v3
	v_sub_f32_e32 v0, v2, v3
	s_waitcnt lgkmcnt(0)
	v_xor_b32_e32 v1, 0x80000000, v1
	ds_write_b32 v9, v1 offset:6916
	v_mov_b32_e32 v1, 0
.LBB0_27:
	s_or_b64 exec, exec, s[4:5]
	v_mov_b32_e32 v29, 0
	s_waitcnt lgkmcnt(0)
	v_lshlrev_b64 v[2:3], 3, v[28:29]
	v_mov_b32_e32 v10, s7
	v_add_co_u32_e32 v2, vcc, s6, v2
	v_addc_co_u32_e32 v3, vcc, v10, v3, vcc
	global_load_dwordx2 v[2:3], v[2:3], off
	v_mov_b32_e32 v35, v29
	v_lshlrev_b64 v[10:11], 3, v[34:35]
	v_mov_b32_e32 v12, s7
	v_add_co_u32_e32 v10, vcc, s6, v10
	v_addc_co_u32_e32 v11, vcc, v12, v11, vcc
	global_load_dwordx2 v[10:11], v[10:11], off
	v_mov_b32_e32 v34, v29
	;; [unrolled: 6-line block ×3, first 2 shown]
	v_lshlrev_b64 v[14:15], 3, v[30:31]
	ds_write2_b32 v47, v8, v9 offset1:1
	ds_write_b64 v7, v[0:1] offset:13824
	v_mov_b32_e32 v20, s7
	v_add_co_u32_e32 v14, vcc, s6, v14
	ds_read_b64 v[0:1], v49
	ds_read_b64 v[8:9], v7 offset:12960
	v_addc_co_u32_e32 v15, vcc, v20, v15, vcc
	global_load_dwordx2 v[14:15], v[14:15], off
	v_mov_b32_e32 v33, v29
	s_waitcnt lgkmcnt(0)
	v_add_f32_e32 v20, v0, v8
	v_add_f32_e32 v23, v1, v9
	v_sub_f32_e32 v0, v0, v8
	v_sub_f32_e32 v1, v1, v9
	v_mul_f32_e32 v8, 0.5, v23
	v_mul_f32_e32 v0, 0.5, v0
	;; [unrolled: 1-line block ×3, first 2 shown]
	v_lshlrev_b64 v[16:17], 3, v[32:33]
	v_mov_b32_e32 v21, s7
	v_add_u32_e32 v28, 0x288, v24
	v_lshlrev_b64 v[18:19], 3, v[28:29]
	v_mov_b32_e32 v22, s7
	v_add_u32_e32 v28, 0x2f4, v24
	s_waitcnt vmcnt(3)
	v_mul_f32_e32 v9, v3, v0
	v_fma_f32 v23, v8, v3, v1
	v_fma_f32 v1, v8, v3, -v1
	v_fma_f32 v3, 0.5, v20, v9
	v_fma_f32 v23, -v2, v0, v23
	v_fma_f32 v9, v20, 0.5, -v9
	v_fma_f32 v0, -v2, v0, v1
	v_fmac_f32_e32 v3, v2, v8
	ds_write_b32 v49, v23 offset:4
	v_fma_f32 v1, -v2, v8, v9
	ds_write_b32 v7, v0 offset:12964
	ds_write_b32 v49, v3
	ds_write_b32 v7, v1 offset:12960
	ds_read_b64 v[0:1], v48
	ds_read_b64 v[2:3], v7 offset:12096
	v_add_co_u32_e32 v8, vcc, s6, v16
	v_addc_co_u32_e32 v9, vcc, v21, v17, vcc
	global_load_dwordx2 v[8:9], v[8:9], off
	s_waitcnt lgkmcnt(0)
	v_add_f32_e32 v16, v0, v2
	v_sub_f32_e32 v0, v0, v2
	v_add_f32_e32 v17, v1, v3
	v_sub_f32_e32 v1, v1, v3
	v_mul_f32_e32 v0, 0.5, v0
	v_mul_f32_e32 v2, 0.5, v17
	;; [unrolled: 1-line block ×3, first 2 shown]
	s_waitcnt vmcnt(3)
	v_mul_f32_e32 v3, v11, v0
	v_fma_f32 v17, v2, v11, v1
	v_fma_f32 v1, v2, v11, -v1
	v_fma_f32 v11, 0.5, v16, v3
	v_fma_f32 v17, -v10, v0, v17
	v_fma_f32 v3, v16, 0.5, -v3
	v_fmac_f32_e32 v11, v10, v2
	v_fma_f32 v1, -v10, v0, v1
	v_fma_f32 v0, -v10, v2, v3
	ds_write2_b32 v48, v11, v17 offset1:1
	ds_write_b64 v7, v[0:1] offset:12096
	ds_read_b64 v[0:1], v6
	ds_read_b64 v[2:3], v7 offset:11232
	v_add_co_u32_e32 v10, vcc, s6, v18
	v_addc_co_u32_e32 v11, vcc, v22, v19, vcc
	global_load_dwordx2 v[10:11], v[10:11], off
	s_waitcnt lgkmcnt(0)
	v_add_f32_e32 v16, v0, v2
	v_sub_f32_e32 v0, v0, v2
	v_add_f32_e32 v17, v1, v3
	v_sub_f32_e32 v1, v1, v3
	v_mul_f32_e32 v3, 0.5, v0
	v_mul_f32_e32 v2, 0.5, v17
	v_mul_f32_e32 v0, 0.5, v1
	s_waitcnt vmcnt(3)
	v_mul_f32_e32 v1, v13, v3
	v_fma_f32 v17, v2, v13, v0
	v_fma_f32 v13, v2, v13, -v0
	v_fma_f32 v18, 0.5, v16, v1
	v_fma_f32 v0, v16, 0.5, -v1
	v_fma_f32 v17, -v12, v3, v17
	v_fmac_f32_e32 v18, v12, v2
	v_fma_f32 v0, -v12, v2, v0
	v_fma_f32 v1, -v12, v3, v13
	v_lshlrev_b64 v[12:13], 3, v[28:29]
	v_mov_b32_e32 v16, s7
	v_add_co_u32_e32 v12, vcc, s6, v12
	ds_write2_b32 v6, v18, v17 offset1:1
	ds_write_b64 v7, v[0:1] offset:11232
	v_addc_co_u32_e32 v13, vcc, v16, v13, vcc
	ds_read_b64 v[0:1], v5
	ds_read_b64 v[2:3], v7 offset:10368
	global_load_dwordx2 v[12:13], v[12:13], off
	s_waitcnt lgkmcnt(0)
	v_add_f32_e32 v6, v0, v2
	v_sub_f32_e32 v0, v0, v2
	v_add_f32_e32 v16, v1, v3
	v_sub_f32_e32 v1, v1, v3
	v_mul_f32_e32 v2, 0.5, v0
	v_mul_f32_e32 v16, 0.5, v16
	;; [unrolled: 1-line block ×3, first 2 shown]
	s_waitcnt vmcnt(3)
	v_mul_f32_e32 v0, v15, v2
	v_fma_f32 v3, 0.5, v6, v0
	v_fma_f32 v17, v16, v15, v1
	v_fmac_f32_e32 v3, v14, v16
	v_fma_f32 v17, -v14, v2, v17
	v_fma_f32 v0, v6, 0.5, -v0
	v_fma_f32 v1, v16, v15, -v1
	v_fma_f32 v0, -v14, v16, v0
	v_fma_f32 v1, -v14, v2, v1
	ds_write2_b32 v5, v3, v17 offset1:1
	ds_write_b64 v7, v[0:1] offset:10368
	ds_read_b64 v[0:1], v4
	ds_read_b64 v[2:3], v7 offset:9504
	s_waitcnt lgkmcnt(0)
	v_add_f32_e32 v5, v0, v2
	v_sub_f32_e32 v0, v0, v2
	v_add_f32_e32 v6, v1, v3
	v_sub_f32_e32 v1, v1, v3
	v_mul_f32_e32 v2, 0.5, v0
	v_mul_f32_e32 v6, 0.5, v6
	;; [unrolled: 1-line block ×3, first 2 shown]
	s_waitcnt vmcnt(2)
	v_mul_f32_e32 v0, v9, v2
	v_fma_f32 v3, 0.5, v5, v0
	v_fma_f32 v14, v6, v9, v1
	v_fmac_f32_e32 v3, v8, v6
	v_fma_f32 v14, -v8, v2, v14
	v_fma_f32 v0, v5, 0.5, -v0
	v_fma_f32 v1, v6, v9, -v1
	v_fma_f32 v0, -v8, v6, v0
	v_fma_f32 v1, -v8, v2, v1
	ds_write2_b32 v4, v3, v14 offset1:1
	ds_write_b64 v7, v[0:1] offset:9504
	ds_read_b64 v[0:1], v47 offset:5184
	ds_read_b64 v[2:3], v7 offset:8640
	s_waitcnt lgkmcnt(0)
	v_add_f32_e32 v4, v0, v2
	v_sub_f32_e32 v0, v0, v2
	v_add_f32_e32 v5, v1, v3
	v_sub_f32_e32 v1, v1, v3
	v_mul_f32_e32 v2, 0.5, v0
	v_mul_f32_e32 v5, 0.5, v5
	;; [unrolled: 1-line block ×3, first 2 shown]
	s_waitcnt vmcnt(1)
	v_mul_f32_e32 v0, v11, v2
	v_fma_f32 v3, 0.5, v4, v0
	v_fma_f32 v6, v5, v11, v1
	v_fmac_f32_e32 v3, v10, v5
	v_fma_f32 v6, -v10, v2, v6
	v_fma_f32 v0, v4, 0.5, -v0
	v_fma_f32 v1, v5, v11, -v1
	v_add_u32_e32 v4, 0x1400, v47
	v_fma_f32 v0, -v10, v5, v0
	v_fma_f32 v1, -v10, v2, v1
	ds_write2_b32 v4, v3, v6 offset0:16 offset1:17
	ds_write_b64 v7, v[0:1] offset:8640
	ds_read_b64 v[0:1], v47 offset:6048
	ds_read_b64 v[2:3], v7 offset:7776
	s_waitcnt lgkmcnt(0)
	v_add_f32_e32 v5, v0, v2
	v_sub_f32_e32 v0, v0, v2
	v_add_f32_e32 v6, v1, v3
	v_sub_f32_e32 v1, v1, v3
	v_mul_f32_e32 v2, 0.5, v0
	v_mul_f32_e32 v6, 0.5, v6
	;; [unrolled: 1-line block ×3, first 2 shown]
	s_waitcnt vmcnt(0)
	v_mul_f32_e32 v0, v13, v2
	v_fma_f32 v3, 0.5, v5, v0
	v_fma_f32 v8, v6, v13, v1
	v_fmac_f32_e32 v3, v12, v6
	v_fma_f32 v8, -v12, v2, v8
	v_fma_f32 v0, v5, 0.5, -v0
	v_fma_f32 v1, v6, v13, -v1
	v_fma_f32 v0, -v12, v6, v0
	v_fma_f32 v1, -v12, v2, v1
	ds_write2_b32 v4, v3, v8 offset0:232 offset1:233
	ds_write_b64 v7, v[0:1] offset:7776
	s_waitcnt lgkmcnt(0)
	s_barrier
	s_and_saveexec_b64 s[4:5], s[0:1]
	s_cbranch_execz .LBB0_30
; %bb.28:
	v_mov_b32_e32 v25, v29
	v_mov_b32_e32 v0, s3
	v_add_co_u32_e32 v1, vcc, s2, v26
	v_lshlrev_b64 v[6:7], 3, v[24:25]
	ds_read2_b64 v[2:5], v47 offset1:108
	v_addc_co_u32_e32 v0, vcc, v0, v27, vcc
	v_add_co_u32_e32 v14, vcc, v1, v6
	v_add_u32_e32 v6, 0x400, v47
	v_addc_co_u32_e32 v15, vcc, v0, v7, vcc
	ds_read2_b64 v[6:9], v6 offset0:88 offset1:196
	v_add_u32_e32 v10, 0xc00, v47
	ds_read2_b64 v[10:13], v10 offset0:48 offset1:156
	s_waitcnt lgkmcnt(2)
	global_store_dwordx2 v[14:15], v[2:3], off
	global_store_dwordx2 v[14:15], v[4:5], off offset:864
	s_waitcnt lgkmcnt(1)
	global_store_dwordx2 v[14:15], v[6:7], off offset:1728
	global_store_dwordx2 v[14:15], v[8:9], off offset:2592
	s_waitcnt lgkmcnt(0)
	global_store_dwordx2 v[14:15], v[10:11], off offset:3456
	v_add_u32_e32 v2, 0x1000, v47
	ds_read2_b64 v[2:5], v2 offset0:136 offset1:244
	s_movk_i32 s0, 0x1000
	v_add_u32_e32 v6, 0x1800, v47
	ds_read2_b64 v[6:9], v6 offset0:96 offset1:204
	v_add_co_u32_e32 v10, vcc, s0, v14
	v_addc_co_u32_e32 v11, vcc, 0, v15, vcc
	global_store_dwordx2 v[10:11], v[12:13], off offset:224
	s_waitcnt lgkmcnt(1)
	global_store_dwordx2 v[10:11], v[2:3], off offset:1088
	global_store_dwordx2 v[10:11], v[4:5], off offset:1952
	s_waitcnt lgkmcnt(0)
	global_store_dwordx2 v[10:11], v[6:7], off offset:2816
	global_store_dwordx2 v[10:11], v[8:9], off offset:3680
	v_add_u32_e32 v2, 0x2000, v47
	ds_read2_b64 v[2:5], v2 offset0:56 offset1:164
	v_add_u32_e32 v6, 0x2800, v47
	s_movk_i32 s0, 0x2000
	ds_read2_b64 v[6:9], v6 offset0:16 offset1:124
	v_add_u32_e32 v10, 0x2c00, v47
	v_add_co_u32_e32 v16, vcc, s0, v14
	ds_read2_b64 v[10:13], v10 offset0:104 offset1:212
	v_addc_co_u32_e32 v17, vcc, 0, v15, vcc
	s_waitcnt lgkmcnt(2)
	global_store_dwordx2 v[16:17], v[2:3], off offset:448
	global_store_dwordx2 v[16:17], v[4:5], off offset:1312
	s_waitcnt lgkmcnt(1)
	global_store_dwordx2 v[16:17], v[6:7], off offset:2176
	global_store_dwordx2 v[16:17], v[8:9], off offset:3040
	s_waitcnt lgkmcnt(0)
	global_store_dwordx2 v[16:17], v[10:11], off offset:3904
	v_add_co_u32_e32 v2, vcc, 0x3000, v14
	v_addc_co_u32_e32 v3, vcc, 0, v15, vcc
	s_movk_i32 s0, 0x6b
	v_cmp_eq_u32_e32 vcc, s0, v24
	global_store_dwordx2 v[2:3], v[12:13], off offset:672
	s_and_b64 exec, exec, vcc
	s_cbranch_execz .LBB0_30
; %bb.29:
	v_mov_b32_e32 v2, 0
	ds_read_b64 v[2:3], v2 offset:13824
	v_add_co_u32_e32 v4, vcc, 0x3000, v1
	v_addc_co_u32_e32 v5, vcc, 0, v0, vcc
	s_waitcnt lgkmcnt(0)
	global_store_dwordx2 v[4:5], v[2:3], off offset:1536
.LBB0_30:
	s_endpgm
	.section	.rodata,"a",@progbits
	.p2align	6, 0x0
	.amdhsa_kernel fft_rtc_back_len1728_factors_3_6_6_16_wgs_108_tpt_108_halfLds_sp_ip_CI_unitstride_sbrr_R2C_dirReg
		.amdhsa_group_segment_fixed_size 0
		.amdhsa_private_segment_fixed_size 0
		.amdhsa_kernarg_size 88
		.amdhsa_user_sgpr_count 6
		.amdhsa_user_sgpr_private_segment_buffer 1
		.amdhsa_user_sgpr_dispatch_ptr 0
		.amdhsa_user_sgpr_queue_ptr 0
		.amdhsa_user_sgpr_kernarg_segment_ptr 1
		.amdhsa_user_sgpr_dispatch_id 0
		.amdhsa_user_sgpr_flat_scratch_init 0
		.amdhsa_user_sgpr_private_segment_size 0
		.amdhsa_uses_dynamic_stack 0
		.amdhsa_system_sgpr_private_segment_wavefront_offset 0
		.amdhsa_system_sgpr_workgroup_id_x 1
		.amdhsa_system_sgpr_workgroup_id_y 0
		.amdhsa_system_sgpr_workgroup_id_z 0
		.amdhsa_system_sgpr_workgroup_info 0
		.amdhsa_system_vgpr_workitem_id 0
		.amdhsa_next_free_vgpr 66
		.amdhsa_next_free_sgpr 22
		.amdhsa_reserve_vcc 1
		.amdhsa_reserve_flat_scratch 0
		.amdhsa_float_round_mode_32 0
		.amdhsa_float_round_mode_16_64 0
		.amdhsa_float_denorm_mode_32 3
		.amdhsa_float_denorm_mode_16_64 3
		.amdhsa_dx10_clamp 1
		.amdhsa_ieee_mode 1
		.amdhsa_fp16_overflow 0
		.amdhsa_exception_fp_ieee_invalid_op 0
		.amdhsa_exception_fp_denorm_src 0
		.amdhsa_exception_fp_ieee_div_zero 0
		.amdhsa_exception_fp_ieee_overflow 0
		.amdhsa_exception_fp_ieee_underflow 0
		.amdhsa_exception_fp_ieee_inexact 0
		.amdhsa_exception_int_div_zero 0
	.end_amdhsa_kernel
	.text
.Lfunc_end0:
	.size	fft_rtc_back_len1728_factors_3_6_6_16_wgs_108_tpt_108_halfLds_sp_ip_CI_unitstride_sbrr_R2C_dirReg, .Lfunc_end0-fft_rtc_back_len1728_factors_3_6_6_16_wgs_108_tpt_108_halfLds_sp_ip_CI_unitstride_sbrr_R2C_dirReg
                                        ; -- End function
	.section	.AMDGPU.csdata,"",@progbits
; Kernel info:
; codeLenInByte = 9324
; NumSgprs: 26
; NumVgprs: 66
; ScratchSize: 0
; MemoryBound: 0
; FloatMode: 240
; IeeeMode: 1
; LDSByteSize: 0 bytes/workgroup (compile time only)
; SGPRBlocks: 3
; VGPRBlocks: 16
; NumSGPRsForWavesPerEU: 26
; NumVGPRsForWavesPerEU: 66
; Occupancy: 3
; WaveLimiterHint : 1
; COMPUTE_PGM_RSRC2:SCRATCH_EN: 0
; COMPUTE_PGM_RSRC2:USER_SGPR: 6
; COMPUTE_PGM_RSRC2:TRAP_HANDLER: 0
; COMPUTE_PGM_RSRC2:TGID_X_EN: 1
; COMPUTE_PGM_RSRC2:TGID_Y_EN: 0
; COMPUTE_PGM_RSRC2:TGID_Z_EN: 0
; COMPUTE_PGM_RSRC2:TIDIG_COMP_CNT: 0
	.type	__hip_cuid_ef692766e0d5f220,@object ; @__hip_cuid_ef692766e0d5f220
	.section	.bss,"aw",@nobits
	.globl	__hip_cuid_ef692766e0d5f220
__hip_cuid_ef692766e0d5f220:
	.byte	0                               ; 0x0
	.size	__hip_cuid_ef692766e0d5f220, 1

	.ident	"AMD clang version 19.0.0git (https://github.com/RadeonOpenCompute/llvm-project roc-6.4.0 25133 c7fe45cf4b819c5991fe208aaa96edf142730f1d)"
	.section	".note.GNU-stack","",@progbits
	.addrsig
	.addrsig_sym __hip_cuid_ef692766e0d5f220
	.amdgpu_metadata
---
amdhsa.kernels:
  - .args:
      - .actual_access:  read_only
        .address_space:  global
        .offset:         0
        .size:           8
        .value_kind:     global_buffer
      - .offset:         8
        .size:           8
        .value_kind:     by_value
      - .actual_access:  read_only
        .address_space:  global
        .offset:         16
        .size:           8
        .value_kind:     global_buffer
      - .actual_access:  read_only
        .address_space:  global
        .offset:         24
        .size:           8
        .value_kind:     global_buffer
      - .offset:         32
        .size:           8
        .value_kind:     by_value
      - .actual_access:  read_only
        .address_space:  global
        .offset:         40
        .size:           8
        .value_kind:     global_buffer
      - .actual_access:  read_only
        .address_space:  global
        .offset:         48
        .size:           8
        .value_kind:     global_buffer
      - .offset:         56
        .size:           4
        .value_kind:     by_value
      - .actual_access:  read_only
        .address_space:  global
        .offset:         64
        .size:           8
        .value_kind:     global_buffer
      - .actual_access:  read_only
        .address_space:  global
        .offset:         72
        .size:           8
        .value_kind:     global_buffer
      - .address_space:  global
        .offset:         80
        .size:           8
        .value_kind:     global_buffer
    .group_segment_fixed_size: 0
    .kernarg_segment_align: 8
    .kernarg_segment_size: 88
    .language:       OpenCL C
    .language_version:
      - 2
      - 0
    .max_flat_workgroup_size: 108
    .name:           fft_rtc_back_len1728_factors_3_6_6_16_wgs_108_tpt_108_halfLds_sp_ip_CI_unitstride_sbrr_R2C_dirReg
    .private_segment_fixed_size: 0
    .sgpr_count:     26
    .sgpr_spill_count: 0
    .symbol:         fft_rtc_back_len1728_factors_3_6_6_16_wgs_108_tpt_108_halfLds_sp_ip_CI_unitstride_sbrr_R2C_dirReg.kd
    .uniform_work_group_size: 1
    .uses_dynamic_stack: false
    .vgpr_count:     66
    .vgpr_spill_count: 0
    .wavefront_size: 64
amdhsa.target:   amdgcn-amd-amdhsa--gfx906
amdhsa.version:
  - 1
  - 2
...

	.end_amdgpu_metadata
